;; amdgpu-corpus repo=ROCm/rocFFT kind=compiled arch=gfx906 opt=O3
	.text
	.amdgcn_target "amdgcn-amd-amdhsa--gfx906"
	.amdhsa_code_object_version 6
	.protected	fft_rtc_fwd_len64_factors_2_2_8_2_wgs_64_tpt_4_dim2_dp_op_CI_CI_sbcc_twdbase8_2step_dirReg ; -- Begin function fft_rtc_fwd_len64_factors_2_2_8_2_wgs_64_tpt_4_dim2_dp_op_CI_CI_sbcc_twdbase8_2step_dirReg
	.globl	fft_rtc_fwd_len64_factors_2_2_8_2_wgs_64_tpt_4_dim2_dp_op_CI_CI_sbcc_twdbase8_2step_dirReg
	.p2align	8
	.type	fft_rtc_fwd_len64_factors_2_2_8_2_wgs_64_tpt_4_dim2_dp_op_CI_CI_sbcc_twdbase8_2step_dirReg,@function
fft_rtc_fwd_len64_factors_2_2_8_2_wgs_64_tpt_4_dim2_dp_op_CI_CI_sbcc_twdbase8_2step_dirReg: ; @fft_rtc_fwd_len64_factors_2_2_8_2_wgs_64_tpt_4_dim2_dp_op_CI_CI_sbcc_twdbase8_2step_dirReg
; %bb.0:
	s_load_dwordx4 s[0:3], s[4:5], 0x10
	s_load_dwordx2 s[28:29], s[4:5], 0x20
	s_mov_b32 s7, 0
	s_mov_b64 s[26:27], -1
	s_mov_b64 s[16:17], 0
	s_waitcnt lgkmcnt(0)
	s_load_dwordx2 s[20:21], s[0:1], 0x8
	s_load_dwordx2 s[24:25], s[4:5], 0x58
	;; [unrolled: 1-line block ×3, first 2 shown]
	s_waitcnt lgkmcnt(0)
	s_add_u32 s0, s20, -1
	s_addc_u32 s1, s21, -1
	s_lshr_b64 s[0:1], s[0:1], 4
	s_add_u32 s0, s0, 1
	s_addc_u32 s1, s1, 0
	v_mov_b32_e32 v2, s1
	v_mov_b32_e32 v1, s0
	v_cmp_lt_u64_e32 vcc, s[6:7], v[1:2]
	s_cbranch_vccnz .LBB0_2
; %bb.1:
	v_cvt_f32_u32_e32 v1, s0
	s_sub_i32 s7, 0, s0
	v_rcp_iflag_f32_e32 v1, v1
	v_mul_f32_e32 v1, 0x4f7ffffe, v1
	v_cvt_u32_f32_e32 v1, v1
	v_readfirstlane_b32 s8, v1
	s_mul_i32 s7, s7, s8
	s_mul_hi_u32 s7, s8, s7
	s_add_i32 s8, s8, s7
	s_mul_hi_u32 s7, s6, s8
	s_mul_i32 s9, s7, s0
	s_sub_i32 s9, s6, s9
	s_add_i32 s8, s7, 1
	s_sub_i32 s10, s9, s0
	s_cmp_ge_u32 s9, s0
	s_cselect_b32 s7, s8, s7
	s_cselect_b32 s9, s10, s9
	s_add_i32 s8, s7, 1
	s_cmp_ge_u32 s9, s0
	s_cselect_b32 s16, s8, s7
.LBB0_2:
	s_mul_i32 s1, s16, s1
	s_mul_hi_u32 s7, s16, s0
	s_load_dwordx4 s[12:15], s[2:3], 0x8
	s_add_i32 s7, s7, s1
	s_mul_i32 s0, s16, s0
	s_sub_u32 s0, s6, s0
	s_subb_u32 s1, 0, s7
	v_mov_b32_e32 v1, s0
	s_lshl_b64 s[6:7], s[0:1], 4
	v_alignbit_b32 v1, s1, v1, 28
	v_readfirstlane_b32 s0, v1
	s_waitcnt lgkmcnt(0)
	s_mul_i32 s1, s6, s13
	s_mul_hi_u32 s2, s6, s12
	s_mul_i32 s0, s0, s12
	s_add_i32 s1, s2, s1
	s_mul_i32 s15, s15, s16
	s_mul_hi_u32 s17, s14, s16
	s_add_i32 s1, s1, s0
	s_mul_i32 s0, s6, s12
	s_add_i32 s17, s17, s15
	s_mul_i32 s14, s14, s16
	s_add_u32 s14, s14, s0
	s_addc_u32 s15, s17, s1
	s_load_dwordx2 s[18:19], s[4:5], 0x0
	s_load_dwordx2 s[2:3], s[28:29], 0x0
	s_load_dwordx4 s[8:11], s[28:29], 0x8
	s_add_u32 s28, s6, 16
	v_mov_b32_e32 v1, s20
	s_addc_u32 s29, s7, 0
	v_mov_b32_e32 v2, s21
	v_cmp_gt_u64_e32 vcc, s[28:29], v[1:2]
	v_and_b32_e32 v67, 15, v0
	v_cmp_le_u64_e64 s[0:1], s[28:29], v[1:2]
	v_or_b32_e32 v65, s6, v67
	v_mov_b32_e32 v66, s7
	v_lshrrev_b32_e32 v68, 4, v0
	s_cbranch_vccz .LBB0_8
; %bb.3:
	v_cmp_le_u64_e32 vcc, s[20:21], v[65:66]
                                        ; implicit-def: $vgpr69
                                        ; implicit-def: $vgpr70
                                        ; implicit-def: $vgpr71
                                        ; implicit-def: $vgpr73
                                        ; implicit-def: $vgpr74
                                        ; implicit-def: $vgpr75
                                        ; implicit-def: $vgpr76
	s_and_saveexec_b64 s[26:27], vcc
	s_xor_b64 s[26:27], exec, s[26:27]
; %bb.4:
	v_or_b32_e32 v69, 4, v68
	v_or_b32_e32 v70, 8, v68
	;; [unrolled: 1-line block ×7, first 2 shown]
; %bb.5:
	s_or_saveexec_b64 s[26:27], s[26:27]
                                        ; implicit-def: $vgpr1_vgpr2
                                        ; implicit-def: $vgpr5_vgpr6
                                        ; implicit-def: $vgpr17_vgpr18
                                        ; implicit-def: $vgpr25_vgpr26
                                        ; implicit-def: $vgpr33_vgpr34
                                        ; implicit-def: $vgpr41_vgpr42
                                        ; implicit-def: $vgpr53_vgpr54
                                        ; implicit-def: $vgpr61_vgpr62
                                        ; implicit-def: $vgpr57_vgpr58
                                        ; implicit-def: $vgpr49_vgpr50
                                        ; implicit-def: $vgpr45_vgpr46
                                        ; implicit-def: $vgpr37_vgpr38
                                        ; implicit-def: $vgpr29_vgpr30
                                        ; implicit-def: $vgpr21_vgpr22
                                        ; implicit-def: $vgpr9_vgpr10
                                        ; implicit-def: $vgpr13_vgpr14
	s_xor_b64 exec, exec, s[26:27]
	s_cbranch_execz .LBB0_7
; %bb.6:
	v_mad_u64_u32 v[1:2], s[28:29], s12, v67, 0
	v_mad_u64_u32 v[3:4], s[28:29], s22, v68, 0
	v_or_b32_e32 v8, 32, v68
	v_or_b32_e32 v69, 4, v68
	v_mad_u64_u32 v[5:6], s[28:29], s13, v67, v[2:3]
	v_mov_b32_e32 v2, v4
	v_mad_u64_u32 v[6:7], s[28:29], s23, v68, v[2:3]
	s_lshl_b64 s[28:29], s[14:15], 4
	s_add_u32 s17, s24, s28
	s_addc_u32 s28, s25, s29
	v_mov_b32_e32 v2, v5
	v_mov_b32_e32 v4, v6
	;; [unrolled: 1-line block ×3, first 2 shown]
	v_mad_u64_u32 v[5:6], s[28:29], s22, v8, 0
	v_lshlrev_b64 v[1:2], 4, v[1:2]
	v_or_b32_e32 v70, 8, v68
	v_add_co_u32_e32 v64, vcc, s17, v1
	v_addc_co_u32_e32 v72, vcc, v7, v2, vcc
	v_lshlrev_b64 v[1:2], 4, v[3:4]
	v_mov_b32_e32 v3, v6
	v_mad_u64_u32 v[3:4], s[28:29], s23, v8, v[3:4]
	v_add_co_u32_e32 v7, vcc, v64, v1
	v_mov_b32_e32 v6, v3
	v_addc_co_u32_e32 v8, vcc, v72, v2, vcc
	v_lshlrev_b64 v[1:2], 4, v[5:6]
	v_mad_u64_u32 v[5:6], s[28:29], s22, v69, 0
	v_add_co_u32_e32 v9, vcc, v64, v1
	v_mov_b32_e32 v1, v6
	v_mad_u64_u32 v[11:12], s[28:29], s23, v69, v[1:2]
	v_or_b32_e32 v12, 36, v68
	v_mad_u64_u32 v[17:18], s[28:29], s22, v12, 0
	v_addc_co_u32_e32 v10, vcc, v72, v2, vcc
	global_load_dwordx4 v[1:4], v[7:8], off
	global_load_dwordx4 v[13:16], v[9:10], off
	v_mov_b32_e32 v7, v18
	v_mad_u64_u32 v[7:8], s[28:29], s23, v12, v[7:8]
	v_mov_b32_e32 v6, v11
	v_lshlrev_b64 v[5:6], 4, v[5:6]
	v_mov_b32_e32 v18, v7
	v_add_co_u32_e32 v19, vcc, v64, v5
	v_addc_co_u32_e32 v20, vcc, v72, v6, vcc
	v_lshlrev_b64 v[5:6], 4, v[17:18]
	v_mad_u64_u32 v[17:18], s[28:29], s22, v70, 0
	v_add_co_u32_e32 v21, vcc, v64, v5
	v_mov_b32_e32 v5, v18
	v_mad_u64_u32 v[23:24], s[28:29], s23, v70, v[5:6]
	v_or_b32_e32 v26, 40, v68
	v_mad_u64_u32 v[24:25], s[28:29], s22, v26, 0
	v_addc_co_u32_e32 v22, vcc, v72, v6, vcc
	global_load_dwordx4 v[5:8], v[19:20], off
	global_load_dwordx4 v[9:12], v[21:22], off
	v_mov_b32_e32 v19, v25
	v_mad_u64_u32 v[19:20], s[28:29], s23, v26, v[19:20]
	v_mov_b32_e32 v18, v23
	v_lshlrev_b64 v[17:18], 4, v[17:18]
	v_or_b32_e32 v71, 12, v68
	v_mad_u64_u32 v[28:29], s[28:29], s22, v71, 0
	v_add_co_u32_e32 v26, vcc, v64, v17
	v_mov_b32_e32 v25, v19
	v_addc_co_u32_e32 v27, vcc, v72, v18, vcc
	v_lshlrev_b64 v[17:18], 4, v[24:25]
	v_or_b32_e32 v35, 44, v68
	v_add_co_u32_e32 v30, vcc, v64, v17
	v_mov_b32_e32 v17, v29
	v_mad_u64_u32 v[32:33], s[28:29], s23, v71, v[17:18]
	v_mad_u64_u32 v[33:34], s[28:29], s22, v35, 0
	v_addc_co_u32_e32 v31, vcc, v72, v18, vcc
	global_load_dwordx4 v[21:24], v[26:27], off
	global_load_dwordx4 v[17:20], v[30:31], off
	v_mov_b32_e32 v29, v32
	v_mov_b32_e32 v27, v34
	v_lshlrev_b64 v[25:26], 4, v[28:29]
	v_mad_u64_u32 v[27:28], s[28:29], s23, v35, v[27:28]
	v_add_co_u32_e32 v35, vcc, v64, v25
	v_mov_b32_e32 v34, v27
	v_or_b32_e32 v73, 16, v68
	v_addc_co_u32_e32 v36, vcc, v72, v26, vcc
	v_lshlrev_b64 v[25:26], 4, v[33:34]
	v_mad_u64_u32 v[33:34], s[28:29], s22, v73, 0
	v_add_co_u32_e32 v37, vcc, v64, v25
	v_mov_b32_e32 v25, v34
	v_mad_u64_u32 v[39:40], s[28:29], s23, v73, v[25:26]
	v_or_b32_e32 v42, 48, v68
	v_mad_u64_u32 v[40:41], s[28:29], s22, v42, 0
	v_addc_co_u32_e32 v38, vcc, v72, v26, vcc
	global_load_dwordx4 v[29:32], v[35:36], off
	global_load_dwordx4 v[25:28], v[37:38], off
	v_mov_b32_e32 v35, v41
	v_mad_u64_u32 v[35:36], s[28:29], s23, v42, v[35:36]
	v_mov_b32_e32 v34, v39
	v_lshlrev_b64 v[33:34], 4, v[33:34]
	v_or_b32_e32 v74, 20, v68
	v_mad_u64_u32 v[44:45], s[28:29], s22, v74, 0
	v_add_co_u32_e32 v42, vcc, v64, v33
	v_mov_b32_e32 v41, v35
	v_addc_co_u32_e32 v43, vcc, v72, v34, vcc
	v_lshlrev_b64 v[33:34], 4, v[40:41]
	v_or_b32_e32 v51, 52, v68
	v_add_co_u32_e32 v46, vcc, v64, v33
	v_mov_b32_e32 v33, v45
	v_mad_u64_u32 v[48:49], s[28:29], s23, v74, v[33:34]
	v_mad_u64_u32 v[49:50], s[28:29], s22, v51, 0
	v_addc_co_u32_e32 v47, vcc, v72, v34, vcc
	global_load_dwordx4 v[33:36], v[42:43], off
	global_load_dwordx4 v[37:40], v[46:47], off
	v_mov_b32_e32 v45, v48
	v_mov_b32_e32 v43, v50
	v_lshlrev_b64 v[41:42], 4, v[44:45]
	v_mad_u64_u32 v[43:44], s[28:29], s23, v51, v[43:44]
	v_add_co_u32_e32 v51, vcc, v64, v41
	v_mov_b32_e32 v50, v43
	v_or_b32_e32 v75, 24, v68
	v_addc_co_u32_e32 v52, vcc, v72, v42, vcc
	v_lshlrev_b64 v[41:42], 4, v[49:50]
	v_mad_u64_u32 v[49:50], s[28:29], s22, v75, 0
	v_add_co_u32_e32 v53, vcc, v64, v41
	v_mov_b32_e32 v41, v50
	v_mad_u64_u32 v[55:56], s[28:29], s23, v75, v[41:42]
	v_or_b32_e32 v58, 56, v68
	v_mad_u64_u32 v[56:57], s[28:29], s22, v58, 0
	v_addc_co_u32_e32 v54, vcc, v72, v42, vcc
	global_load_dwordx4 v[41:44], v[51:52], off
	global_load_dwordx4 v[45:48], v[53:54], off
	v_mov_b32_e32 v51, v57
	v_mad_u64_u32 v[51:52], s[28:29], s23, v58, v[51:52]
	v_mov_b32_e32 v50, v55
	v_lshlrev_b64 v[49:50], 4, v[49:50]
	v_or_b32_e32 v76, 28, v68
	v_mad_u64_u32 v[60:61], s[28:29], s22, v76, 0
	v_add_co_u32_e32 v58, vcc, v64, v49
	v_mov_b32_e32 v57, v51
	v_addc_co_u32_e32 v59, vcc, v72, v50, vcc
	v_lshlrev_b64 v[49:50], 4, v[56:57]
	v_or_b32_e32 v80, 60, v68
	v_add_co_u32_e32 v62, vcc, v64, v49
	v_mov_b32_e32 v49, v61
	v_mad_u64_u32 v[77:78], s[28:29], s23, v76, v[49:50]
	v_mad_u64_u32 v[78:79], s[28:29], s22, v80, 0
	v_addc_co_u32_e32 v63, vcc, v72, v50, vcc
	global_load_dwordx4 v[49:52], v[58:59], off
	global_load_dwordx4 v[53:56], v[62:63], off
	v_mov_b32_e32 v61, v77
	v_mov_b32_e32 v59, v79
	v_lshlrev_b64 v[57:58], 4, v[60:61]
	v_mad_u64_u32 v[59:60], s[28:29], s23, v80, v[59:60]
	v_add_co_u32_e32 v80, vcc, v64, v57
	v_mov_b32_e32 v79, v59
	v_addc_co_u32_e32 v81, vcc, v72, v58, vcc
	v_lshlrev_b64 v[57:58], 4, v[78:79]
	v_add_co_u32_e32 v77, vcc, v64, v57
	v_addc_co_u32_e32 v78, vcc, v72, v58, vcc
	global_load_dwordx4 v[57:60], v[80:81], off
	global_load_dwordx4 v[61:64], v[77:78], off
.LBB0_7:
	s_or_b64 exec, exec, s[26:27]
	v_or_b32_e32 v72, 32, v68
	s_cbranch_execz .LBB0_9
	s_branch .LBB0_10
.LBB0_8:
                                        ; implicit-def: $vgpr1_vgpr2
                                        ; implicit-def: $vgpr5_vgpr6
                                        ; implicit-def: $vgpr17_vgpr18
                                        ; implicit-def: $vgpr69
                                        ; implicit-def: $vgpr70
                                        ; implicit-def: $vgpr71
                                        ; implicit-def: $vgpr73
                                        ; implicit-def: $vgpr74
                                        ; implicit-def: $vgpr75
                                        ; implicit-def: $vgpr76
                                        ; implicit-def: $vgpr25_vgpr26
                                        ; implicit-def: $vgpr33_vgpr34
                                        ; implicit-def: $vgpr41_vgpr42
                                        ; implicit-def: $vgpr53_vgpr54
                                        ; implicit-def: $vgpr61_vgpr62
                                        ; implicit-def: $vgpr57_vgpr58
                                        ; implicit-def: $vgpr49_vgpr50
                                        ; implicit-def: $vgpr45_vgpr46
                                        ; implicit-def: $vgpr37_vgpr38
                                        ; implicit-def: $vgpr29_vgpr30
                                        ; implicit-def: $vgpr21_vgpr22
                                        ; implicit-def: $vgpr9_vgpr10
                                        ; implicit-def: $vgpr13_vgpr14
	s_andn2_b64 vcc, exec, s[26:27]
	v_or_b32_e32 v72, 32, v68
	s_cbranch_vccnz .LBB0_10
.LBB0_9:
	s_waitcnt vmcnt(15)
	v_mad_u64_u32 v[1:2], s[26:27], s12, v67, 0
	v_mad_u64_u32 v[3:4], s[26:27], s22, v68, 0
	v_or_b32_e32 v69, 4, v68
	v_or_b32_e32 v70, 8, v68
	s_waitcnt vmcnt(13)
	v_mad_u64_u32 v[5:6], s[12:13], s13, v67, v[2:3]
	v_mov_b32_e32 v2, v4
	v_mad_u64_u32 v[6:7], s[12:13], s23, v68, v[2:3]
	s_lshl_b64 s[12:13], s[14:15], 4
	s_add_u32 s14, s24, s12
	s_addc_u32 s12, s25, s13
	v_mov_b32_e32 v2, v5
	v_mov_b32_e32 v4, v6
	;; [unrolled: 1-line block ×3, first 2 shown]
	v_mad_u64_u32 v[5:6], s[12:13], s22, v72, 0
	v_lshlrev_b64 v[1:2], 4, v[1:2]
	s_waitcnt vmcnt(8)
	v_or_b32_e32 v26, 40, v68
	s_waitcnt vmcnt(0)
	v_add_co_u32_e32 v64, vcc, s14, v1
	v_addc_co_u32_e32 v82, vcc, v7, v2, vcc
	v_lshlrev_b64 v[1:2], 4, v[3:4]
	v_mov_b32_e32 v3, v6
	v_mad_u64_u32 v[3:4], s[12:13], s23, v72, v[3:4]
	v_add_co_u32_e32 v7, vcc, v64, v1
	v_mov_b32_e32 v6, v3
	v_addc_co_u32_e32 v8, vcc, v82, v2, vcc
	v_lshlrev_b64 v[1:2], 4, v[5:6]
	v_mad_u64_u32 v[5:6], s[12:13], s22, v69, 0
	v_add_co_u32_e32 v9, vcc, v64, v1
	v_mov_b32_e32 v1, v6
	v_mad_u64_u32 v[11:12], s[12:13], s23, v69, v[1:2]
	v_or_b32_e32 v12, 36, v68
	v_mad_u64_u32 v[17:18], s[12:13], s22, v12, 0
	v_addc_co_u32_e32 v10, vcc, v82, v2, vcc
	global_load_dwordx4 v[1:4], v[7:8], off
	global_load_dwordx4 v[13:16], v[9:10], off
	v_mov_b32_e32 v7, v18
	v_mad_u64_u32 v[7:8], s[12:13], s23, v12, v[7:8]
	v_mov_b32_e32 v6, v11
	v_lshlrev_b64 v[5:6], 4, v[5:6]
	v_mov_b32_e32 v18, v7
	v_add_co_u32_e32 v19, vcc, v64, v5
	v_addc_co_u32_e32 v20, vcc, v82, v6, vcc
	v_lshlrev_b64 v[5:6], 4, v[17:18]
	v_mad_u64_u32 v[17:18], s[12:13], s22, v70, 0
	v_add_co_u32_e32 v21, vcc, v64, v5
	v_mov_b32_e32 v5, v18
	v_mad_u64_u32 v[23:24], s[12:13], s23, v70, v[5:6]
	v_mad_u64_u32 v[24:25], s[12:13], s22, v26, 0
	v_addc_co_u32_e32 v22, vcc, v82, v6, vcc
	global_load_dwordx4 v[5:8], v[19:20], off
	global_load_dwordx4 v[9:12], v[21:22], off
	v_mov_b32_e32 v19, v25
	v_mad_u64_u32 v[19:20], s[12:13], s23, v26, v[19:20]
	v_mov_b32_e32 v18, v23
	v_lshlrev_b64 v[17:18], 4, v[17:18]
	v_or_b32_e32 v71, 12, v68
	v_mad_u64_u32 v[28:29], s[12:13], s22, v71, 0
	v_add_co_u32_e32 v26, vcc, v64, v17
	v_mov_b32_e32 v25, v19
	v_addc_co_u32_e32 v27, vcc, v82, v18, vcc
	v_lshlrev_b64 v[17:18], 4, v[24:25]
	v_or_b32_e32 v35, 44, v68
	v_add_co_u32_e32 v30, vcc, v64, v17
	v_mov_b32_e32 v17, v29
	v_mad_u64_u32 v[32:33], s[12:13], s23, v71, v[17:18]
	v_mad_u64_u32 v[33:34], s[12:13], s22, v35, 0
	v_addc_co_u32_e32 v31, vcc, v82, v18, vcc
	global_load_dwordx4 v[21:24], v[26:27], off
	global_load_dwordx4 v[17:20], v[30:31], off
	v_mov_b32_e32 v29, v32
	v_mov_b32_e32 v27, v34
	v_lshlrev_b64 v[25:26], 4, v[28:29]
	v_mad_u64_u32 v[27:28], s[12:13], s23, v35, v[27:28]
	v_add_co_u32_e32 v35, vcc, v64, v25
	v_mov_b32_e32 v34, v27
	v_or_b32_e32 v73, 16, v68
	v_addc_co_u32_e32 v36, vcc, v82, v26, vcc
	v_lshlrev_b64 v[25:26], 4, v[33:34]
	v_mad_u64_u32 v[33:34], s[12:13], s22, v73, 0
	v_add_co_u32_e32 v37, vcc, v64, v25
	v_mov_b32_e32 v25, v34
	v_mad_u64_u32 v[39:40], s[12:13], s23, v73, v[25:26]
	v_or_b32_e32 v42, 48, v68
	v_mad_u64_u32 v[40:41], s[12:13], s22, v42, 0
	v_addc_co_u32_e32 v38, vcc, v82, v26, vcc
	global_load_dwordx4 v[29:32], v[35:36], off
	global_load_dwordx4 v[25:28], v[37:38], off
	v_mov_b32_e32 v35, v41
	v_mad_u64_u32 v[35:36], s[12:13], s23, v42, v[35:36]
	v_mov_b32_e32 v34, v39
	v_lshlrev_b64 v[33:34], 4, v[33:34]
	v_or_b32_e32 v74, 20, v68
	v_mad_u64_u32 v[44:45], s[12:13], s22, v74, 0
	v_add_co_u32_e32 v42, vcc, v64, v33
	v_mov_b32_e32 v41, v35
	v_addc_co_u32_e32 v43, vcc, v82, v34, vcc
	v_lshlrev_b64 v[33:34], 4, v[40:41]
	v_or_b32_e32 v51, 52, v68
	v_add_co_u32_e32 v46, vcc, v64, v33
	v_mov_b32_e32 v33, v45
	v_mad_u64_u32 v[48:49], s[12:13], s23, v74, v[33:34]
	v_mad_u64_u32 v[49:50], s[12:13], s22, v51, 0
	v_addc_co_u32_e32 v47, vcc, v82, v34, vcc
	global_load_dwordx4 v[33:36], v[42:43], off
	global_load_dwordx4 v[37:40], v[46:47], off
	v_mov_b32_e32 v45, v48
	v_mov_b32_e32 v43, v50
	v_lshlrev_b64 v[41:42], 4, v[44:45]
	v_mad_u64_u32 v[43:44], s[12:13], s23, v51, v[43:44]
	v_add_co_u32_e32 v51, vcc, v64, v41
	v_mov_b32_e32 v50, v43
	v_or_b32_e32 v75, 24, v68
	v_addc_co_u32_e32 v52, vcc, v82, v42, vcc
	v_lshlrev_b64 v[41:42], 4, v[49:50]
	v_mad_u64_u32 v[49:50], s[12:13], s22, v75, 0
	v_add_co_u32_e32 v53, vcc, v64, v41
	v_mov_b32_e32 v41, v50
	v_mad_u64_u32 v[55:56], s[12:13], s23, v75, v[41:42]
	v_or_b32_e32 v58, 56, v68
	v_mad_u64_u32 v[56:57], s[12:13], s22, v58, 0
	v_addc_co_u32_e32 v54, vcc, v82, v42, vcc
	global_load_dwordx4 v[41:44], v[51:52], off
	global_load_dwordx4 v[45:48], v[53:54], off
	v_mov_b32_e32 v51, v57
	v_mad_u64_u32 v[51:52], s[12:13], s23, v58, v[51:52]
	v_mov_b32_e32 v50, v55
	v_lshlrev_b64 v[49:50], 4, v[49:50]
	v_or_b32_e32 v76, 28, v68
	v_mad_u64_u32 v[60:61], s[12:13], s22, v76, 0
	v_add_co_u32_e32 v58, vcc, v64, v49
	v_mov_b32_e32 v57, v51
	v_addc_co_u32_e32 v59, vcc, v82, v50, vcc
	v_lshlrev_b64 v[49:50], 4, v[56:57]
	v_or_b32_e32 v80, 60, v68
	v_add_co_u32_e32 v62, vcc, v64, v49
	v_mov_b32_e32 v49, v61
	v_mad_u64_u32 v[77:78], s[12:13], s23, v76, v[49:50]
	v_mad_u64_u32 v[78:79], s[12:13], s22, v80, 0
	v_addc_co_u32_e32 v63, vcc, v82, v50, vcc
	global_load_dwordx4 v[49:52], v[58:59], off
	global_load_dwordx4 v[53:56], v[62:63], off
	v_mov_b32_e32 v61, v77
	v_mov_b32_e32 v59, v79
	v_lshlrev_b64 v[57:58], 4, v[60:61]
	v_mad_u64_u32 v[59:60], s[12:13], s23, v80, v[59:60]
	v_add_co_u32_e32 v80, vcc, v64, v57
	v_mov_b32_e32 v79, v59
	v_addc_co_u32_e32 v81, vcc, v82, v58, vcc
	v_lshlrev_b64 v[57:58], 4, v[78:79]
	v_add_co_u32_e32 v77, vcc, v64, v57
	v_addc_co_u32_e32 v78, vcc, v82, v58, vcc
	global_load_dwordx4 v[57:60], v[80:81], off
	global_load_dwordx4 v[61:64], v[77:78], off
.LBB0_10:
	s_waitcnt vmcnt(14)
	v_add_f64 v[13:14], v[1:2], -v[13:14]
	v_add_f64 v[15:16], v[3:4], -v[15:16]
	s_waitcnt vmcnt(10)
	v_add_f64 v[17:18], v[21:22], -v[17:18]
	v_add_f64 v[19:20], v[23:24], -v[19:20]
	s_waitcnt vmcnt(8)
	v_add_f64 v[25:26], v[29:30], -v[25:26]
	v_add_f64 v[9:10], v[5:6], -v[9:10]
	v_add_f64 v[11:12], v[7:8], -v[11:12]
	v_add_f64 v[27:28], v[31:32], -v[27:28]
	v_fma_f64 v[1:2], v[1:2], 2.0, -v[13:14]
	v_fma_f64 v[3:4], v[3:4], 2.0, -v[15:16]
	v_lshlrev_b32_e32 v78, 9, v68
	v_lshlrev_b32_e32 v77, 4, v67
	v_add3_u32 v78, 0, v78, v77
	ds_write_b128 v78, v[13:16] offset:256
	v_fma_f64 v[13:14], v[29:30], 2.0, -v[25:26]
	s_waitcnt vmcnt(4)
	v_add_f64 v[29:30], v[41:42], -v[45:46]
	s_waitcnt vmcnt(0)
	v_add_f64 v[45:46], v[57:58], -v[61:62]
	ds_write_b128 v78, v[1:4]
	v_fma_f64 v[1:2], v[21:22], 2.0, -v[17:18]
	v_fma_f64 v[3:4], v[23:24], 2.0, -v[19:20]
	v_add_f64 v[21:22], v[33:34], -v[37:38]
	v_add_f64 v[23:24], v[35:36], -v[39:40]
	v_fma_f64 v[5:6], v[5:6], 2.0, -v[9:10]
	v_fma_f64 v[7:8], v[7:8], 2.0, -v[11:12]
	;; [unrolled: 1-line block ×3, first 2 shown]
	v_add_f64 v[31:32], v[43:44], -v[47:48]
	v_add_f64 v[37:38], v[49:50], -v[53:54]
	v_add_f64 v[39:40], v[51:52], -v[55:56]
	v_add_f64 v[47:48], v[59:60], -v[63:64]
	v_fma_f64 v[33:34], v[33:34], 2.0, -v[21:22]
	v_fma_f64 v[35:36], v[35:36], 2.0, -v[23:24]
	v_fma_f64 v[53:54], v[57:58], 2.0, -v[45:46]
	v_lshlrev_b32_e32 v57, 9, v69
	v_add3_u32 v57, 0, v57, v77
	v_fma_f64 v[41:42], v[41:42], 2.0, -v[29:30]
	v_fma_f64 v[43:44], v[43:44], 2.0, -v[31:32]
	ds_write_b128 v57, v[5:8]
	ds_write_b128 v57, v[9:12] offset:256
	v_lshlrev_b32_e32 v5, 9, v70
	v_add3_u32 v5, 0, v5, v77
	v_fma_f64 v[49:50], v[49:50], 2.0, -v[37:38]
	v_fma_f64 v[51:52], v[51:52], 2.0, -v[39:40]
	ds_write_b128 v5, v[1:4]
	ds_write_b128 v5, v[17:20] offset:256
	v_lshlrev_b32_e32 v1, 9, v71
	v_add3_u32 v1, 0, v1, v77
	v_fma_f64 v[55:56], v[59:60], 2.0, -v[47:48]
	ds_write_b128 v1, v[13:16]
	ds_write_b128 v1, v[25:28] offset:256
	v_lshlrev_b32_e32 v1, 9, v73
	v_add3_u32 v1, 0, v1, v77
	ds_write_b128 v1, v[33:36]
	ds_write_b128 v1, v[21:24] offset:256
	v_lshlrev_b32_e32 v1, 9, v74
	v_add3_u32 v1, 0, v1, v77
	;; [unrolled: 4-line block ×4, first 2 shown]
	ds_write_b128 v1, v[53:56]
	ds_write_b128 v1, v[45:48] offset:256
	v_and_b32_e32 v1, 16, v0
	s_waitcnt lgkmcnt(0)
	; wave barrier
	s_waitcnt lgkmcnt(0)
	global_load_dwordx4 v[1:4], v1, s[18:19]
	v_lshlrev_b32_e32 v5, 8, v68
	v_lshlrev_b32_e32 v6, 8, v69
	;; [unrolled: 1-line block ×4, first 2 shown]
	v_add3_u32 v13, 0, v5, v77
	v_add3_u32 v10, 0, v6, v77
	;; [unrolled: 1-line block ×4, first 2 shown]
	ds_read_b128 v[5:8], v13
	ds_read_b128 v[14:17], v13 offset:8192
	ds_read_b128 v[22:25], v13 offset:9216
	;; [unrolled: 1-line block ×7, first 2 shown]
	v_lshlrev_b32_e32 v9, 8, v73
	v_add3_u32 v21, 0, v9, v77
	v_lshl_or_b32 v20, v68, 1, v68
	v_and_b32_e32 v20, 5, v20
	v_lshlrev_b32_e32 v20, 8, v20
	v_add3_u32 v20, 0, v20, v77
	s_mov_b32 s14, 0x667f3bcd
	s_mov_b32 s15, 0xbfe6a09e
	;; [unrolled: 1-line block ×4, first 2 shown]
	v_cmp_gt_u64_e32 vcc, s[20:21], v[65:66]
	s_or_b64 s[0:1], s[0:1], vcc
	s_waitcnt vmcnt(0) lgkmcnt(5)
	v_mul_f64 v[48:49], v[24:25], v[3:4]
	v_mul_f64 v[11:12], v[16:17], v[3:4]
	v_mul_f64 v[46:47], v[14:15], v[3:4]
	s_waitcnt lgkmcnt(4)
	v_mul_f64 v[52:53], v[28:29], v[3:4]
	v_mul_f64 v[54:55], v[26:27], v[3:4]
	;; [unrolled: 1-line block ×3, first 2 shown]
	s_waitcnt lgkmcnt(1)
	v_mul_f64 v[78:79], v[40:41], v[3:4]
	v_mul_f64 v[56:57], v[32:33], v[3:4]
	v_fma_f64 v[48:49], v[22:23], v[1:2], -v[48:49]
	v_mul_f64 v[22:23], v[38:39], v[3:4]
	v_fma_f64 v[11:12], v[14:15], v[1:2], -v[11:12]
	v_fma_f64 v[46:47], v[16:17], v[1:2], v[46:47]
	v_fma_f64 v[52:53], v[26:27], v[1:2], -v[52:53]
	v_fma_f64 v[54:55], v[28:29], v[1:2], v[54:55]
	s_waitcnt lgkmcnt(0)
	v_mul_f64 v[26:27], v[44:45], v[3:4]
	v_mul_f64 v[28:29], v[42:43], v[3:4]
	ds_read_b128 v[14:17], v13 offset:15360
	v_mul_f64 v[58:59], v[30:31], v[3:4]
	v_mul_f64 v[60:61], v[36:37], v[3:4]
	;; [unrolled: 1-line block ×3, first 2 shown]
	v_fma_f64 v[50:51], v[24:25], v[1:2], v[50:51]
	v_fma_f64 v[78:79], v[38:39], v[1:2], -v[78:79]
	v_fma_f64 v[80:81], v[40:41], v[1:2], v[22:23]
	ds_read_b128 v[22:25], v10
	s_waitcnt lgkmcnt(1)
	v_mul_f64 v[38:39], v[16:17], v[3:4]
	v_mul_f64 v[3:4], v[14:15], v[3:4]
	v_fma_f64 v[82:83], v[42:43], v[1:2], -v[26:27]
	v_fma_f64 v[84:85], v[44:45], v[1:2], v[28:29]
	v_add_f64 v[26:27], v[5:6], -v[11:12]
	v_add_f64 v[28:29], v[7:8], -v[46:47]
	v_fma_f64 v[56:57], v[30:31], v[1:2], -v[56:57]
	v_fma_f64 v[58:59], v[32:33], v[1:2], v[58:59]
	v_fma_f64 v[60:61], v[34:35], v[1:2], -v[60:61]
	v_fma_f64 v[62:63], v[36:37], v[1:2], v[62:63]
	;; [unrolled: 2-line block ×3, first 2 shown]
	v_lshlrev_b32_e32 v1, 8, v74
	v_add3_u32 v9, 0, v1, v77
	v_fma_f64 v[1:2], v[5:6], 2.0, -v[26:27]
	v_fma_f64 v[3:4], v[7:8], 2.0, -v[28:29]
	s_waitcnt lgkmcnt(0)
	v_add_f64 v[46:47], v[22:23], -v[48:49]
	v_add_f64 v[48:49], v[24:25], -v[50:51]
	v_lshlrev_b32_e32 v5, 8, v75
	ds_read_b128 v[30:33], v18
	ds_read_b128 v[34:37], v19
	v_add3_u32 v11, 0, v5, v77
	v_lshlrev_b32_e32 v5, 8, v76
	v_add3_u32 v12, 0, v5, v77
	ds_read_b128 v[5:8], v21
	ds_read_b128 v[14:17], v9
	;; [unrolled: 1-line block ×4, first 2 shown]
	s_waitcnt lgkmcnt(0)
	; wave barrier
	s_waitcnt lgkmcnt(0)
	ds_write_b128 v20, v[1:4]
	ds_write_b128 v20, v[26:29] offset:512
	v_fma_f64 v[1:2], v[22:23], 2.0, -v[46:47]
	v_fma_f64 v[3:4], v[24:25], 2.0, -v[48:49]
	v_lshlrev_b32_e32 v22, 1, v69
	v_or_b32_e32 v20, v22, v68
	v_add_f64 v[24:25], v[30:31], -v[52:53]
	v_add_f64 v[26:27], v[32:33], -v[54:55]
	;; [unrolled: 1-line block ×3, first 2 shown]
	v_and_b32_e32 v20, 0xfd, v20
	v_lshlrev_b32_e32 v20, 8, v20
	v_add3_u32 v20, 0, v20, v77
	v_add_f64 v[52:53], v[36:37], -v[58:59]
	ds_write_b128 v20, v[1:4]
	ds_write_b128 v20, v[46:49] offset:512
	v_add_f64 v[46:47], v[14:15], -v[78:79]
	v_fma_f64 v[1:2], v[30:31], 2.0, -v[24:25]
	v_fma_f64 v[3:4], v[32:33], 2.0, -v[26:27]
	;; [unrolled: 1-line block ×3, first 2 shown]
	v_add_f64 v[32:33], v[5:6], -v[60:61]
	v_add_f64 v[34:35], v[7:8], -v[62:63]
	;; [unrolled: 1-line block ×3, first 2 shown]
	v_lshlrev_b32_e32 v23, 1, v70
	v_fma_f64 v[30:31], v[36:37], 2.0, -v[52:53]
	v_fma_f64 v[78:79], v[14:15], 2.0, -v[46:47]
	v_or_b32_e32 v14, v23, v68
	v_and_b32_e32 v14, 0xfd, v14
	v_lshlrev_b32_e32 v14, 8, v14
	v_add3_u32 v14, 0, v14, v77
	v_lshlrev_b32_e32 v20, 1, v71
	v_add_f64 v[54:55], v[38:39], -v[82:83]
	v_add_f64 v[56:57], v[40:41], -v[84:85]
	v_fma_f64 v[5:6], v[5:6], 2.0, -v[32:33]
	v_fma_f64 v[7:8], v[7:8], 2.0, -v[34:35]
	ds_write_b128 v14, v[1:4]
	ds_write_b128 v14, v[24:27] offset:512
	v_or_b32_e32 v1, v20, v68
	v_and_b32_e32 v1, 0xfd, v1
	v_lshlrev_b32_e32 v1, 8, v1
	v_fma_f64 v[80:81], v[16:17], 2.0, -v[48:49]
	v_add3_u32 v1, 0, v1, v77
	v_lshlrev_b32_e32 v17, 1, v73
	v_add_f64 v[58:59], v[42:43], -v[86:87]
	v_add_f64 v[60:61], v[44:45], -v[88:89]
	ds_write_b128 v1, v[28:31]
	ds_write_b128 v1, v[50:53] offset:512
	v_or_b32_e32 v1, v17, v68
	v_and_b32_e32 v1, 0xfd, v1
	v_lshlrev_b32_e32 v1, 8, v1
	v_add3_u32 v1, 0, v1, v77
	v_lshlrev_b32_e32 v16, 1, v74
	v_fma_f64 v[36:37], v[38:39], 2.0, -v[54:55]
	v_fma_f64 v[38:39], v[40:41], 2.0, -v[56:57]
	ds_write_b128 v1, v[5:8]
	ds_write_b128 v1, v[32:35] offset:512
	v_or_b32_e32 v1, v16, v68
	v_and_b32_e32 v1, 0xfd, v1
	v_lshlrev_b32_e32 v1, 8, v1
	v_add3_u32 v1, 0, v1, v77
	v_lshlrev_b32_e32 v15, 1, v75
	v_fma_f64 v[40:41], v[42:43], 2.0, -v[58:59]
	v_fma_f64 v[42:43], v[44:45], 2.0, -v[60:61]
	ds_write_b128 v1, v[78:81]
	ds_write_b128 v1, v[46:49] offset:512
	v_or_b32_e32 v1, v15, v68
	v_and_b32_e32 v1, 0xfd, v1
	v_lshlrev_b32_e32 v1, 8, v1
	v_add3_u32 v1, 0, v1, v77
	v_lshlrev_b32_e32 v14, 1, v76
	ds_write_b128 v1, v[36:39]
	ds_write_b128 v1, v[54:57] offset:512
	v_or_b32_e32 v1, v14, v68
	v_and_b32_e32 v1, 0xfd, v1
	v_lshlrev_b32_e32 v1, 8, v1
	v_add3_u32 v1, 0, v1, v77
	ds_write_b128 v1, v[40:43]
	ds_write_b128 v1, v[58:61] offset:512
	v_mul_u32_u24_e32 v1, 7, v68
	v_lshlrev_b32_e32 v44, 4, v1
	s_waitcnt lgkmcnt(0)
	; wave barrier
	s_waitcnt lgkmcnt(0)
	global_load_dwordx4 v[1:4], v44, s[18:19] offset:32
	global_load_dwordx4 v[5:8], v44, s[18:19] offset:48
	;; [unrolled: 1-line block ×7, first 2 shown]
	ds_read_b128 v[44:47], v18
	ds_read_b128 v[48:51], v10
	ds_read_b128 v[52:55], v13 offset:3072
	ds_read_b128 v[56:59], v13
	ds_read_b128 v[60:63], v21
	ds_read_b128 v[82:85], v13 offset:5120
	s_waitcnt vmcnt(6) lgkmcnt(5)
	v_mul_f64 v[78:79], v[46:47], v[3:4]
	v_mul_f64 v[86:87], v[44:45], v[3:4]
	s_waitcnt lgkmcnt(3)
	v_mul_f64 v[88:89], v[54:55], v[3:4]
	v_mul_f64 v[3:4], v[52:53], v[3:4]
	s_waitcnt vmcnt(5) lgkmcnt(1)
	v_mul_f64 v[92:93], v[60:61], v[7:8]
	s_waitcnt lgkmcnt(0)
	v_mul_f64 v[96:97], v[84:85], v[7:8]
	v_fma_f64 v[90:91], v[44:45], v[1:2], -v[78:79]
	v_mul_f64 v[44:45], v[62:63], v[7:8]
	ds_read_b128 v[78:81], v11
	v_fma_f64 v[86:87], v[46:47], v[1:2], v[86:87]
	v_fma_f64 v[88:89], v[52:53], v[1:2], -v[88:89]
	v_fma_f64 v[94:95], v[54:55], v[1:2], v[3:4]
	ds_read_b128 v[1:4], v13 offset:7168
	v_mul_f64 v[7:8], v[82:83], v[7:8]
	v_fma_f64 v[92:93], v[62:63], v[5:6], v[92:93]
	v_fma_f64 v[98:99], v[60:61], v[5:6], -v[44:45]
	ds_read_b128 v[44:47], v13 offset:8192
	s_waitcnt vmcnt(4) lgkmcnt(2)
	v_mul_f64 v[60:61], v[80:81], v[26:27]
	v_mul_f64 v[62:63], v[78:79], v[26:27]
	s_waitcnt lgkmcnt(1)
	v_mul_f64 v[100:101], v[3:4], v[26:27]
	v_mul_f64 v[26:27], v[1:2], v[26:27]
	s_waitcnt vmcnt(3) lgkmcnt(0)
	v_mul_f64 v[102:103], v[46:47], v[30:31]
	v_mul_f64 v[104:105], v[44:45], v[30:31]
	ds_read_b128 v[52:55], v13 offset:9216
	v_fma_f64 v[82:83], v[82:83], v[5:6], -v[96:97]
	v_fma_f64 v[84:85], v[84:85], v[5:6], v[7:8]
	v_fma_f64 v[96:97], v[78:79], v[24:25], -v[60:61]
	v_fma_f64 v[106:107], v[80:81], v[24:25], v[62:63]
	;; [unrolled: 2-line block ×3, first 2 shown]
	ds_read_b128 v[1:4], v13 offset:10240
	v_fma_f64 v[102:103], v[44:45], v[28:29], -v[102:103]
	v_fma_f64 v[104:105], v[46:47], v[28:29], v[104:105]
	ds_read_b128 v[5:8], v13 offset:12288
	ds_read_b128 v[24:27], v13 offset:11264
	;; [unrolled: 1-line block ×3, first 2 shown]
	s_waitcnt lgkmcnt(4)
	v_mul_f64 v[110:111], v[54:55], v[30:31]
	v_mul_f64 v[30:31], v[52:53], v[30:31]
	s_waitcnt vmcnt(2) lgkmcnt(3)
	v_mul_f64 v[112:113], v[3:4], v[34:35]
	s_waitcnt vmcnt(1) lgkmcnt(2)
	v_mul_f64 v[114:115], v[5:6], v[38:39]
	s_waitcnt vmcnt(0) lgkmcnt(0)
	v_mul_f64 v[116:117], v[44:45], v[42:43]
	v_mul_f64 v[118:119], v[1:2], v[34:35]
	;; [unrolled: 1-line block ×3, first 2 shown]
	ds_read_b128 v[60:63], v13 offset:13312
	ds_read_b128 v[78:81], v13 offset:15360
	v_fma_f64 v[52:53], v[52:53], v[28:29], -v[110:111]
	v_mul_f64 v[110:111], v[7:8], v[38:39]
	v_fma_f64 v[28:29], v[54:55], v[28:29], v[30:31]
	v_fma_f64 v[7:8], v[7:8], v[36:37], v[114:115]
	v_fma_f64 v[1:2], v[1:2], v[32:33], -v[112:113]
	v_fma_f64 v[30:31], v[46:47], v[40:41], v[116:117]
	v_fma_f64 v[3:4], v[3:4], v[32:33], v[118:119]
	v_fma_f64 v[44:45], v[44:45], v[40:41], -v[120:121]
	v_add_f64 v[54:55], v[56:57], -v[102:103]
	v_mul_f64 v[46:47], v[26:27], v[34:35]
	v_fma_f64 v[5:6], v[5:6], v[36:37], -v[110:111]
	v_add_f64 v[7:8], v[92:93], -v[7:8]
	v_add_f64 v[102:103], v[90:91], -v[1:2]
	;; [unrolled: 1-line block ×3, first 2 shown]
	v_mul_f64 v[1:2], v[24:25], v[34:35]
	s_waitcnt lgkmcnt(1)
	v_mul_f64 v[34:35], v[62:63], v[38:39]
	v_add_f64 v[110:111], v[86:87], -v[3:4]
	v_add_f64 v[44:45], v[96:97], -v[44:45]
	;; [unrolled: 1-line block ×6, first 2 shown]
	v_fma_f64 v[3:4], v[24:25], v[32:33], -v[46:47]
	v_fma_f64 v[24:25], v[26:27], v[32:33], v[1:2]
	v_mul_f64 v[1:2], v[60:61], v[38:39]
	v_fma_f64 v[26:27], v[60:61], v[36:37], -v[34:35]
	v_add_f64 v[32:33], v[110:111], v[44:45]
	v_fma_f64 v[46:47], v[54:55], 2.0, -v[112:113]
	s_waitcnt lgkmcnt(0)
	v_mul_f64 v[38:39], v[80:81], v[42:43]
	v_fma_f64 v[34:35], v[102:103], 2.0, -v[114:115]
	v_mul_f64 v[42:43], v[78:79], v[42:43]
	v_add_f64 v[116:117], v[104:105], v[5:6]
	v_fma_f64 v[1:2], v[62:63], v[36:37], v[1:2]
	v_add_f64 v[52:53], v[48:49], -v[52:53]
	v_fma_f64 v[36:37], v[110:111], 2.0, -v[32:33]
	v_fma_f64 v[7:8], v[92:93], 2.0, -v[7:8]
	v_fma_f64 v[38:39], v[78:79], v[40:41], -v[38:39]
	v_fma_f64 v[62:63], v[34:35], s[14:15], v[46:47]
	v_fma_f64 v[40:41], v[80:81], v[40:41], v[42:43]
	v_fma_f64 v[60:61], v[104:105], 2.0, -v[116:117]
	v_fma_f64 v[42:43], v[56:57], 2.0, -v[54:55]
	v_add_f64 v[54:55], v[84:85], -v[1:2]
	v_fma_f64 v[56:57], v[58:59], 2.0, -v[104:105]
	v_fma_f64 v[86:87], v[86:87], 2.0, -v[110:111]
	;; [unrolled: 1-line block ×3, first 2 shown]
	v_fma_f64 v[1:2], v[36:37], s[14:15], v[62:63]
	v_add_f64 v[62:63], v[88:89], -v[3:4]
	v_add_f64 v[40:41], v[108:109], -v[40:41]
	v_fma_f64 v[98:99], v[98:99], 2.0, -v[5:6]
	v_fma_f64 v[90:91], v[90:91], 2.0, -v[102:103]
	;; [unrolled: 1-line block ×3, first 2 shown]
	v_fma_f64 v[58:59], v[36:37], s[14:15], v[60:61]
	v_add_f64 v[28:29], v[50:51], -v[28:29]
	v_add_f64 v[36:37], v[82:83], -v[26:27]
	;; [unrolled: 1-line block ×8, first 2 shown]
	v_fma_f64 v[24:25], v[114:115], s[12:13], v[112:113]
	v_add_f64 v[98:99], v[42:43], -v[98:99]
	v_add_f64 v[44:45], v[90:91], -v[44:45]
	v_fma_f64 v[3:4], v[34:35], s[12:13], v[58:59]
	v_add_f64 v[104:105], v[28:29], v[36:37]
	v_add_f64 v[34:35], v[80:81], v[38:39]
	v_fma_f64 v[30:31], v[118:119], s[12:13], v[78:79]
	v_fma_f64 v[56:57], v[56:57], 2.0, -v[106:107]
	v_fma_f64 v[86:87], v[86:87], 2.0, -v[110:111]
	v_fma_f64 v[26:27], v[32:33], s[12:13], v[116:117]
	v_fma_f64 v[5:6], v[32:33], s[14:15], v[24:25]
	v_fma_f64 v[42:43], v[42:43], 2.0, -v[98:99]
	v_fma_f64 v[32:33], v[90:91], 2.0, -v[44:45]
	;; [unrolled: 1-line block ×8, first 2 shown]
	v_fma_f64 v[52:53], v[34:35], s[12:13], v[104:105]
	v_fma_f64 v[28:29], v[34:35], s[14:15], v[30:31]
	v_add_f64 v[34:35], v[56:57], -v[86:87]
	v_fma_f64 v[82:83], v[82:83], 2.0, -v[36:37]
	v_fma_f64 v[54:55], v[84:85], 2.0, -v[54:55]
	v_fma_f64 v[62:63], v[88:89], 2.0, -v[62:63]
	v_fma_f64 v[80:81], v[94:95], 2.0, -v[80:81]
	v_fma_f64 v[84:85], v[100:101], 2.0, -v[38:39]
	v_fma_f64 v[40:41], v[108:109], 2.0, -v[40:41]
	v_add_f64 v[32:33], v[42:43], -v[32:33]
	v_fma_f64 v[38:39], v[56:57], 2.0, -v[34:35]
	v_add_f64 v[56:57], v[48:49], -v[82:83]
	v_add_f64 v[82:83], v[50:51], -v[54:55]
	v_fma_f64 v[7:8], v[114:115], s[12:13], v[26:27]
	v_fma_f64 v[24:25], v[96:97], s[14:15], v[58:59]
	v_add_f64 v[84:85], v[62:63], -v[84:85]
	v_add_f64 v[86:87], v[80:81], -v[40:41]
	v_fma_f64 v[36:37], v[42:43], 2.0, -v[32:33]
	v_add_f64 v[40:41], v[98:99], -v[110:111]
	v_add_f64 v[42:43], v[106:107], v[44:45]
	v_fma_f64 v[44:45], v[46:47], 2.0, -v[1:2]
	v_fma_f64 v[46:47], v[60:61], 2.0, -v[3:4]
	;; [unrolled: 1-line block ×6, first 2 shown]
	v_fma_f64 v[26:27], v[102:103], s[14:15], v[92:93]
	v_fma_f64 v[48:49], v[98:99], 2.0, -v[40:41]
	v_fma_f64 v[50:51], v[106:107], 2.0, -v[42:43]
	v_fma_f64 v[30:31], v[118:119], s[12:13], v[52:53]
	s_waitcnt lgkmcnt(0)
	; wave barrier
	v_fma_f64 v[52:53], v[112:113], 2.0, -v[5:6]
	v_fma_f64 v[54:55], v[116:117], 2.0, -v[7:8]
	ds_write_b128 v13, v[36:39]
	v_add_f64 v[36:37], v[60:61], -v[62:63]
	v_add_f64 v[38:39], v[88:89], -v[80:81]
	v_fma_f64 v[24:25], v[102:103], s[14:15], v[24:25]
	v_fma_f64 v[26:27], v[96:97], s[12:13], v[26:27]
	ds_write_b128 v13, v[44:47] offset:1024
	ds_write_b128 v13, v[48:51] offset:2048
	v_add_f64 v[44:45], v[56:57], -v[86:87]
	v_add_f64 v[46:47], v[82:83], v[84:85]
	ds_write_b128 v13, v[52:55] offset:3072
	ds_write_b128 v13, v[32:35] offset:4096
	v_fma_f64 v[32:33], v[60:61], 2.0, -v[36:37]
	v_fma_f64 v[34:35], v[88:89], 2.0, -v[38:39]
	;; [unrolled: 1-line block ×8, first 2 shown]
	ds_write_b128 v13, v[1:4] offset:5120
	ds_write_b128 v13, v[40:43] offset:6144
	;; [unrolled: 1-line block ×3, first 2 shown]
	v_lshlrev_b32_e32 v1, 3, v69
	s_movk_i32 s12, 0x3e0
	v_and_or_b32 v1, v1, s12, v68
	v_lshlrev_b32_e32 v1, 8, v1
	v_add3_u32 v1, 0, v1, v77
	ds_write_b128 v1, v[32:35]
	ds_write_b128 v1, v[48:51] offset:1024
	ds_write_b128 v1, v[52:55] offset:2048
	;; [unrolled: 1-line block ×7, first 2 shown]
	s_waitcnt lgkmcnt(0)
	; wave barrier
	s_waitcnt lgkmcnt(0)
	s_and_saveexec_b64 s[12:13], s[0:1]
	s_cbranch_execz .LBB0_12
; %bb.11:
	v_and_b32_e32 v24, 31, v76
	v_lshlrev_b32_e32 v1, 4, v24
	global_load_dwordx4 v[1:4], v1, s[18:19] offset:480
	v_and_b32_e32 v25, 31, v75
	v_lshlrev_b32_e32 v5, 4, v25
	global_load_dwordx4 v[5:8], v5, s[18:19] offset:480
	v_mul_lo_u32 v28, v65, v24
	s_load_dwordx2 s[0:1], s[4:5], 0x8
	s_load_dwordx2 s[12:13], s[4:5], 0x60
	v_mov_b32_e32 v27, 4
	v_mov_b32_e32 v26, 0x1000
	v_lshlrev_b32_sdwa v38, v27, v28 dst_sel:DWORD dst_unused:UNUSED_PAD src0_sel:DWORD src1_sel:BYTE_0
	v_bfe_u32 v28, v28, 8, 8
	v_lshl_or_b32 v28, v28, 4, v26
	s_waitcnt lgkmcnt(0)
	global_load_dwordx4 v[30:33], v38, s[0:1]
	global_load_dwordx4 v[34:37], v28, s[0:1]
	v_mul_lo_u32 v29, v65, v25
	v_or_b32_e32 v28, 32, v24
	v_mul_lo_u32 v28, v65, v28
	v_and_b32_e32 v136, 31, v70
	v_lshlrev_b32_sdwa v46, v27, v29 dst_sel:DWORD dst_unused:UNUSED_PAD src0_sel:DWORD src1_sel:BYTE_0
	v_bfe_u32 v29, v29, 8, 8
	v_lshl_or_b32 v29, v29, 4, v26
	global_load_dwordx4 v[38:41], v46, s[0:1]
	global_load_dwordx4 v[42:45], v29, s[0:1]
	v_lshlrev_b32_sdwa v29, v27, v28 dst_sel:DWORD dst_unused:UNUSED_PAD src0_sel:DWORD src1_sel:BYTE_0
	v_bfe_u32 v28, v28, 8, 8
	v_lshl_or_b32 v28, v28, 4, v26
	global_load_dwordx4 v[46:49], v29, s[0:1]
	global_load_dwordx4 v[50:53], v28, s[0:1]
	v_or_b32_e32 v28, 32, v25
	v_mul_lo_u32 v28, v65, v28
	v_and_b32_e32 v0, 48, v0
	s_mul_i32 s4, s11, s16
	s_mul_hi_u32 s5, s10, s16
	v_lshlrev_b32_sdwa v29, v27, v28 dst_sel:DWORD dst_unused:UNUSED_PAD src0_sel:DWORD src1_sel:BYTE_0
	v_bfe_u32 v28, v28, 8, 8
	v_lshl_or_b32 v28, v28, 4, v26
	global_load_dwordx4 v[54:57], v29, s[0:1]
	global_load_dwordx4 v[58:61], v28, s[0:1]
	v_and_b32_e32 v28, 31, v74
	v_lshlrev_b32_e32 v29, 4, v28
	v_or_b32_e32 v62, 32, v28
	global_load_dwordx4 v[74:77], v29, s[18:19] offset:480
	v_mul_lo_u32 v29, v65, v62
	s_add_i32 s5, s5, s4
	s_mul_i32 s4, s10, s16
	s_lshl_b64 s[4:5], s[4:5], 4
	v_lshlrev_b32_sdwa v62, v27, v29 dst_sel:DWORD dst_unused:UNUSED_PAD src0_sel:DWORD src1_sel:BYTE_0
	v_bfe_u32 v29, v29, 8, 8
	v_lshl_or_b32 v29, v29, 4, v26
	global_load_dwordx4 v[78:81], v62, s[0:1]
	global_load_dwordx4 v[82:85], v29, s[0:1]
	ds_read_b128 v[86:89], v13 offset:14336
	ds_read_b128 v[90:93], v13 offset:13312
	;; [unrolled: 1-line block ×3, first 2 shown]
	ds_read_b128 v[98:101], v10
	v_mul_lo_u32 v10, v65, v28
	v_and_b32_e32 v29, 31, v73
	v_lshlrev_b32_e32 v62, 4, v29
	v_or_b32_e32 v63, 32, v29
	global_load_dwordx4 v[102:105], v62, s[18:19] offset:480
	v_lshlrev_b32_sdwa v62, v27, v10 dst_sel:DWORD dst_unused:UNUSED_PAD src0_sel:DWORD src1_sel:BYTE_0
	v_bfe_u32 v10, v10, 8, 8
	v_mul_lo_u32 v66, v65, v63
	v_lshl_or_b32 v10, v10, 4, v26
	global_load_dwordx4 v[106:109], v62, s[0:1]
	global_load_dwordx4 v[110:113], v10, s[0:1]
	v_mul_lo_u32 v64, v65, v29
	v_lshlrev_b32_sdwa v10, v27, v66 dst_sel:DWORD dst_unused:UNUSED_PAD src0_sel:DWORD src1_sel:BYTE_0
	v_bfe_u32 v66, v66, 8, 8
	v_lshl_or_b32 v66, v66, 4, v26
	v_lshlrev_b32_sdwa v73, v27, v64 dst_sel:DWORD dst_unused:UNUSED_PAD src0_sel:DWORD src1_sel:BYTE_0
	v_bfe_u32 v64, v64, 8, 8
	v_lshl_or_b32 v64, v64, 4, v26
	s_waitcnt vmcnt(15) lgkmcnt(1)
	v_mul_f64 v[62:63], v[94:95], v[3:4]
	v_mul_f64 v[3:4], v[96:97], v[3:4]
	s_waitcnt vmcnt(14)
	v_mul_f64 v[118:119], v[86:87], v[7:8]
	v_mul_f64 v[7:8], v[88:89], v[7:8]
	v_fma_f64 v[62:63], v[96:97], v[1:2], v[62:63]
	v_fma_f64 v[122:123], v[94:95], v[1:2], -v[3:4]
	global_load_dwordx4 v[94:97], v10, s[0:1]
	global_load_dwordx4 v[114:117], v66, s[0:1]
	s_waitcnt vmcnt(14)
	v_mul_f64 v[3:4], v[30:31], v[36:37]
	v_mul_f64 v[1:2], v[32:33], v[36:37]
	v_fma_f64 v[124:125], v[88:89], v[5:6], v[118:119]
	v_fma_f64 v[5:6], v[86:87], v[5:6], -v[7:8]
	global_load_dwordx4 v[86:89], v73, s[0:1]
	global_load_dwordx4 v[118:121], v64, s[0:1]
	v_and_b32_e32 v66, 31, v71
	v_fma_f64 v[128:129], v[32:33], v[34:35], v[3:4]
	v_lshlrev_b32_e32 v3, 4, v66
	v_fma_f64 v[126:127], v[30:31], v[34:35], -v[1:2]
	global_load_dwordx4 v[30:33], v3, s[18:19] offset:480
	s_waitcnt vmcnt(15)
	v_mul_f64 v[7:8], v[40:41], v[44:45]
	v_mul_f64 v[1:2], v[38:39], v[44:45]
	s_waitcnt vmcnt(13)
	v_mul_f64 v[44:45], v[48:49], v[52:53]
	v_fma_f64 v[130:131], v[38:39], v[42:43], -v[7:8]
	v_mul_f64 v[7:8], v[46:47], v[52:53]
	v_fma_f64 v[132:133], v[40:41], v[42:43], v[1:2]
	ds_read_b128 v[1:4], v12
	ds_read_b128 v[34:37], v11
	v_fma_f64 v[10:11], v[46:47], v[50:51], -v[44:45]
	s_waitcnt vmcnt(11)
	v_mul_f64 v[38:39], v[56:57], v[60:61]
	v_mul_f64 v[40:41], v[54:55], v[60:61]
	s_waitcnt lgkmcnt(1)
	v_add_f64 v[42:43], v[1:2], -v[122:123]
	v_add_f64 v[44:45], v[3:4], -v[62:63]
	v_fma_f64 v[7:8], v[48:49], v[50:51], v[7:8]
	s_waitcnt vmcnt(10)
	v_mul_f64 v[46:47], v[90:91], v[76:77]
	s_waitcnt lgkmcnt(0)
	v_add_f64 v[122:123], v[34:35], -v[5:6]
	v_fma_f64 v[62:63], v[54:55], v[58:59], -v[38:39]
	v_fma_f64 v[58:59], v[56:57], v[58:59], v[40:41]
	v_fma_f64 v[54:55], v[1:2], 2.0, -v[42:43]
	v_fma_f64 v[56:57], v[3:4], 2.0, -v[44:45]
	v_mul_f64 v[38:39], v[42:43], v[7:8]
	v_mul_f64 v[7:8], v[44:45], v[7:8]
	v_mul_f64 v[40:41], v[92:93], v[76:77]
	s_waitcnt vmcnt(8)
	v_mul_f64 v[48:49], v[80:81], v[84:85]
	v_fma_f64 v[92:93], v[92:93], v[74:75], v[46:47]
	v_mul_f64 v[5:6], v[54:55], v[128:129]
	v_fma_f64 v[3:4], v[44:45], v[10:11], v[38:39]
	v_fma_f64 v[1:2], v[42:43], v[10:11], -v[7:8]
	v_or_b32_e32 v7, 32, v66
	v_mul_lo_u32 v12, v65, v7
	v_mul_f64 v[10:11], v[56:57], v[128:129]
	v_mul_f64 v[7:8], v[78:79], v[84:85]
	v_fma_f64 v[90:91], v[90:91], v[74:75], -v[40:41]
	v_lshlrev_b32_sdwa v46, v27, v12 dst_sel:DWORD dst_unused:UNUSED_PAD src0_sel:DWORD src1_sel:BYTE_0
	v_bfe_u32 v12, v12, 8, 8
	v_lshl_or_b32 v12, v12, 4, v26
	global_load_dwordx4 v[38:41], v46, s[0:1]
	global_load_dwordx4 v[42:45], v12, s[0:1]
	v_fma_f64 v[128:129], v[78:79], v[82:83], -v[48:49]
	ds_read_b128 v[46:49], v13 offset:12288
	ds_read_b128 v[50:53], v13 offset:11264
	v_fma_f64 v[134:135], v[80:81], v[82:83], v[7:8]
	s_waitcnt vmcnt(7)
	v_mul_f64 v[60:61], v[108:109], v[112:113]
	v_mul_f64 v[73:74], v[106:107], v[112:113]
	s_waitcnt lgkmcnt(1)
	v_mul_f64 v[75:76], v[46:47], v[104:105]
	v_fma_f64 v[7:8], v[56:57], v[126:127], v[5:6]
	v_fma_f64 v[5:6], v[54:55], v[126:127], -v[10:11]
	v_mul_f64 v[10:11], v[48:49], v[104:105]
	v_mul_lo_u32 v12, v65, v66
	v_add_f64 v[81:82], v[36:37], -v[124:125]
	v_fma_f64 v[104:105], v[106:107], v[110:111], -v[60:61]
	v_fma_f64 v[106:107], v[108:109], v[110:111], v[73:74]
	v_fma_f64 v[108:109], v[48:49], v[102:103], v[75:76]
	v_lshlrev_b32_sdwa v64, v27, v12 dst_sel:DWORD dst_unused:UNUSED_PAD src0_sel:DWORD src1_sel:BYTE_0
	v_bfe_u32 v12, v12, 8, 8
	v_fma_f64 v[102:103], v[46:47], v[102:103], -v[10:11]
	v_lshl_or_b32 v12, v12, 4, v26
	global_load_dwordx4 v[46:49], v64, s[0:1]
	global_load_dwordx4 v[54:57], v12, s[0:1]
	v_fma_f64 v[112:113], v[36:37], 2.0, -v[81:82]
	v_mul_f64 v[83:84], v[122:123], v[58:59]
	v_mul_f64 v[110:111], v[81:82], v[58:59]
	s_waitcnt vmcnt(7)
	v_mul_f64 v[10:11], v[94:95], v[116:117]
	v_mul_f64 v[60:61], v[96:97], v[116:117]
	s_waitcnt vmcnt(5)
	v_mul_f64 v[36:37], v[86:87], v[120:121]
	v_mul_f64 v[73:74], v[88:89], v[120:121]
	v_fma_f64 v[96:97], v[96:97], v[114:115], v[10:11]
	v_lshlrev_b32_e32 v10, 4, v136
	v_fma_f64 v[94:95], v[94:95], v[114:115], -v[60:61]
	global_load_dwordx4 v[58:61], v10, s[18:19] offset:480
	v_or_b32_e32 v10, 32, v136
	v_mul_lo_u32 v12, v65, v10
	s_waitcnt vmcnt(5) lgkmcnt(0)
	v_mul_f64 v[10:11], v[50:51], v[32:33]
	v_mul_f64 v[32:33], v[52:53], v[32:33]
	v_fma_f64 v[70:71], v[88:89], v[118:119], v[36:37]
	v_lshlrev_b32_sdwa v36, v27, v12 dst_sel:DWORD dst_unused:UNUSED_PAD src0_sel:DWORD src1_sel:BYTE_0
	v_bfe_u32 v12, v12, 8, 8
	v_lshl_or_b32 v12, v12, 4, v26
	v_fma_f64 v[114:115], v[86:87], v[118:119], -v[73:74]
	global_load_dwordx4 v[73:76], v36, s[0:1]
	global_load_dwordx4 v[77:80], v12, s[0:1]
	v_mul_lo_u32 v12, v65, v136
	v_fma_f64 v[116:117], v[52:53], v[30:31], v[10:11]
	v_fma_f64 v[85:86], v[34:35], 2.0, -v[122:123]
	v_fma_f64 v[118:119], v[50:51], v[30:31], -v[32:33]
	v_lshlrev_b32_sdwa v10, v27, v12 dst_sel:DWORD dst_unused:UNUSED_PAD src0_sel:DWORD src1_sel:BYTE_0
	v_bfe_u32 v11, v12, 8, 8
	v_lshl_or_b32 v11, v11, 4, v26
	global_load_dwordx4 v[30:33], v10, s[0:1]
	global_load_dwordx4 v[34:37], v11, s[0:1]
	ds_read_b128 v[50:53], v9
	v_fma_f64 v[11:12], v[81:82], v[62:63], v[83:84]
	ds_read_b128 v[81:84], v21
	v_fma_f64 v[9:10], v[122:123], v[62:63], -v[110:111]
	v_mul_f64 v[62:63], v[85:86], v[132:133]
	v_mul_f64 v[110:111], v[112:113], v[132:133]
	s_waitcnt lgkmcnt(1)
	v_add_f64 v[89:90], v[50:51], -v[90:91]
	v_add_f64 v[120:121], v[52:53], -v[92:93]
	s_waitcnt lgkmcnt(0)
	v_add_f64 v[102:103], v[81:82], -v[102:103]
	v_add_f64 v[108:109], v[83:84], -v[108:109]
	v_and_b32_e32 v21, 31, v69
	v_fma_f64 v[87:88], v[112:113], v[130:131], v[62:63]
	v_fma_f64 v[85:86], v[85:86], v[130:131], -v[110:111]
	v_mul_f64 v[62:63], v[89:90], v[134:135]
	v_mul_f64 v[110:111], v[120:121], v[134:135]
	v_fma_f64 v[112:113], v[52:53], 2.0, -v[120:121]
	v_fma_f64 v[124:125], v[81:82], 2.0, -v[102:103]
	;; [unrolled: 1-line block ×3, first 2 shown]
	v_mul_f64 v[83:84], v[102:103], v[96:97]
	v_mul_f64 v[96:97], v[108:109], v[96:97]
	v_fma_f64 v[91:92], v[120:121], v[128:129], v[62:63]
	v_fma_f64 v[62:63], v[50:51], 2.0, -v[89:90]
	v_fma_f64 v[89:90], v[89:90], v[128:129], -v[110:111]
	ds_read_b128 v[50:53], v19
	s_waitcnt vmcnt(7)
	v_mul_f64 v[110:111], v[40:41], v[44:45]
	v_mul_f64 v[44:45], v[38:39], v[44:45]
	v_fma_f64 v[83:84], v[108:109], v[94:95], v[83:84]
	v_mul_f64 v[120:121], v[62:63], v[106:107]
	v_fma_f64 v[110:111], v[38:39], v[42:43], -v[110:111]
	v_fma_f64 v[81:82], v[40:41], v[42:43], v[44:45]
	ds_read_b128 v[38:41], v18
	v_mul_f64 v[42:43], v[112:113], v[106:107]
	s_waitcnt lgkmcnt(1)
	v_add_f64 v[116:117], v[52:53], -v[116:117]
	v_add_f64 v[18:19], v[50:51], -v[118:119]
	v_mul_f64 v[106:107], v[124:125], v[70:71]
	v_mul_f64 v[70:71], v[122:123], v[70:71]
	v_fma_f64 v[44:45], v[112:113], v[104:105], v[120:121]
	v_fma_f64 v[42:43], v[62:63], v[104:105], -v[42:43]
	v_mul_f64 v[62:63], v[116:117], v[81:82]
	v_mul_f64 v[112:113], v[18:19], v[81:82]
	s_waitcnt vmcnt(5)
	v_mul_f64 v[118:119], v[48:49], v[56:57]
	v_mul_f64 v[56:57], v[46:47], v[56:57]
	v_fma_f64 v[81:82], v[102:103], v[94:95], -v[96:97]
	v_fma_f64 v[95:96], v[122:123], v[114:115], v[106:107]
	ds_read_b128 v[106:109], v13 offset:10240
	v_fma_f64 v[93:94], v[124:125], v[114:115], -v[70:71]
	v_fma_f64 v[102:103], v[18:19], v[110:111], -v[62:63]
	v_fma_f64 v[70:71], v[52:53], 2.0, -v[116:117]
	v_fma_f64 v[18:19], v[50:51], 2.0, -v[18:19]
	ds_read_b128 v[50:53], v13 offset:9216
	v_fma_f64 v[104:105], v[116:117], v[110:111], v[112:113]
	v_fma_f64 v[110:111], v[46:47], v[54:55], -v[118:119]
	v_fma_f64 v[112:113], v[48:49], v[54:55], v[56:57]
	s_waitcnt vmcnt(4) lgkmcnt(1)
	v_mul_f64 v[62:63], v[106:107], v[60:61]
	v_or_b32_e32 v54, 32, v21
	v_mul_lo_u32 v54, v65, v54
	v_lshlrev_b32_e32 v46, 4, v21
	global_load_dwordx4 v[46:49], v46, s[18:19] offset:480
	v_mul_f64 v[114:115], v[108:109], v[60:61]
	v_lshlrev_b32_sdwa v64, v27, v54 dst_sel:DWORD dst_unused:UNUSED_PAD src0_sel:DWORD src1_sel:BYTE_0
	v_bfe_u32 v54, v54, 8, 8
	v_fma_f64 v[122:123], v[108:109], v[58:59], v[62:63]
	v_lshl_or_b32 v69, v54, 4, v26
	global_load_dwordx4 v[54:57], v64, s[0:1]
	global_load_dwordx4 v[60:63], v69, s[0:1]
	s_waitcnt vmcnt(5)
	v_mul_f64 v[108:109], v[75:76], v[79:80]
	v_mul_f64 v[79:80], v[73:74], v[79:80]
	v_fma_f64 v[58:59], v[106:107], v[58:59], -v[114:115]
	v_mul_lo_u32 v64, v65, v21
	v_mul_f64 v[114:115], v[18:19], v[112:113]
	v_mul_f64 v[116:117], v[70:71], v[112:113]
	s_waitcnt vmcnt(3)
	v_mul_f64 v[106:107], v[32:33], v[36:37]
	v_mul_f64 v[36:37], v[30:31], v[36:37]
	v_lshlrev_b32_sdwa v69, v27, v64 dst_sel:DWORD dst_unused:UNUSED_PAD src0_sel:DWORD src1_sel:BYTE_0
	v_fma_f64 v[124:125], v[73:74], v[77:78], -v[108:109]
	v_fma_f64 v[126:127], v[75:76], v[77:78], v[79:80]
	v_fma_f64 v[112:113], v[70:71], v[110:111], v[114:115]
	v_fma_f64 v[110:111], v[18:19], v[110:111], -v[116:117]
	v_fma_f64 v[128:129], v[30:31], v[34:35], -v[106:107]
	v_fma_f64 v[130:131], v[32:33], v[34:35], v[36:37]
	global_load_dwordx4 v[30:33], v0, s[18:19] offset:480
	v_bfe_u32 v0, v64, 8, 8
	v_mul_lo_u32 v64, v65, v72
	v_lshl_or_b32 v0, v0, 4, v26
	global_load_dwordx4 v[34:37], v69, s[0:1]
	global_load_dwordx4 v[73:76], v0, s[0:1]
	v_lshlrev_b32_sdwa v0, v27, v64 dst_sel:DWORD dst_unused:UNUSED_PAD src0_sel:DWORD src1_sel:BYTE_0
	v_bfe_u32 v64, v64, 8, 8
	v_lshl_or_b32 v64, v64, 4, v26
	global_load_dwordx4 v[77:80], v0, s[0:1]
	global_load_dwordx4 v[106:109], v64, s[0:1]
	v_mul_lo_u32 v0, v65, v68
	v_lshlrev_b32_sdwa v18, v27, v0 dst_sel:DWORD dst_unused:UNUSED_PAD src0_sel:DWORD src1_sel:BYTE_0
	v_bfe_u32 v0, v0, 8, 8
	v_lshl_or_b32 v0, v0, 4, v26
	global_load_dwordx4 v[114:117], v18, s[0:1]
	global_load_dwordx4 v[118:121], v0, s[0:1]
	v_add_f64 v[26:27], v[38:39], -v[58:59]
	v_add_f64 v[18:19], v[40:41], -v[122:123]
	s_mul_i32 s0, s8, s7
	s_mul_hi_u32 s1, s8, s6
	s_add_i32 s0, s1, s0
	s_mul_i32 s1, s9, s6
	s_add_i32 s1, s0, s1
	s_mul_i32 s0, s8, s6
	v_fma_f64 v[64:65], v[38:39], 2.0, -v[26:27]
	v_mul_f64 v[38:39], v[26:27], v[126:127]
	v_fma_f64 v[58:59], v[40:41], 2.0, -v[18:19]
	v_mul_f64 v[69:70], v[18:19], v[126:127]
	s_add_u32 s4, s12, s4
	s_addc_u32 s5, s13, s5
	s_lshl_b64 s[0:1], s[0:1], 4
	s_add_u32 s4, s4, s0
	s_addc_u32 s0, s5, s1
	v_fma_f64 v[40:41], v[18:19], v[124:125], v[38:39]
	v_mul_f64 v[18:19], v[64:65], v[130:131]
	v_fma_f64 v[38:39], v[26:27], v[124:125], -v[69:70]
	v_mul_f64 v[26:27], v[58:59], v[130:131]
	v_fma_f64 v[124:125], v[58:59], v[128:129], v[18:19]
	v_fma_f64 v[122:123], v[64:65], v[128:129], -v[26:27]
	s_waitcnt vmcnt(9) lgkmcnt(0)
	v_mul_f64 v[69:70], v[52:53], v[48:49]
	v_mul_f64 v[18:19], v[50:51], v[48:49]
	s_waitcnt vmcnt(7)
	v_mul_f64 v[48:49], v[54:55], v[62:63]
	v_mul_f64 v[58:59], v[56:57], v[62:63]
	v_fma_f64 v[26:27], v[50:51], v[46:47], -v[69:70]
	v_fma_f64 v[18:19], v[52:53], v[46:47], v[18:19]
	v_fma_f64 v[56:57], v[56:57], v[60:61], v[48:49]
	ds_read_b128 v[46:49], v13
	ds_read_b128 v[50:53], v13 offset:8192
	v_add_f64 v[26:27], v[98:99], -v[26:27]
	v_fma_f64 v[54:55], v[54:55], v[60:61], -v[58:59]
	v_add_f64 v[18:19], v[100:101], -v[18:19]
	s_waitcnt vmcnt(6) lgkmcnt(0)
	v_mul_f64 v[58:59], v[50:51], v[32:33]
	v_mul_f64 v[32:33], v[52:53], v[32:33]
	;; [unrolled: 1-line block ×3, first 2 shown]
	v_fma_f64 v[64:65], v[98:99], 2.0, -v[26:27]
	s_waitcnt vmcnt(4)
	v_mul_f64 v[62:63], v[34:35], v[75:76]
	v_fma_f64 v[52:53], v[52:53], v[30:31], v[58:59]
	v_fma_f64 v[30:31], v[50:51], v[30:31], -v[32:33]
	s_waitcnt vmcnt(2)
	v_mul_f64 v[50:51], v[77:78], v[108:109]
	v_fma_f64 v[32:33], v[18:19], v[54:55], v[60:61]
	v_fma_f64 v[58:59], v[100:101], 2.0, -v[18:19]
	v_mul_f64 v[60:61], v[36:37], v[75:76]
	v_fma_f64 v[36:37], v[36:37], v[73:74], v[62:63]
	v_mul_f64 v[62:63], v[79:80], v[108:109]
	v_mul_f64 v[18:19], v[18:19], v[56:57]
	v_add_f64 v[69:70], v[46:47], -v[30:31]
	v_fma_f64 v[30:31], v[79:80], v[106:107], v[50:51]
	v_add_f64 v[50:51], v[48:49], -v[52:53]
	s_waitcnt vmcnt(0)
	v_mul_f64 v[52:53], v[114:115], v[120:121]
	v_fma_f64 v[34:35], v[34:35], v[73:74], -v[60:61]
	v_mul_f64 v[56:57], v[64:65], v[36:37]
	v_fma_f64 v[62:63], v[77:78], v[106:107], -v[62:63]
	v_mul_f64 v[77:78], v[116:117], v[120:121]
	v_fma_f64 v[79:80], v[46:47], 2.0, -v[69:70]
	v_mul_f64 v[73:74], v[69:70], v[30:31]
	v_mul_f64 v[75:76], v[50:51], v[30:31]
	v_fma_f64 v[52:53], v[116:117], v[118:119], v[52:53]
	v_fma_f64 v[30:31], v[26:27], v[54:55], -v[18:19]
	v_fma_f64 v[18:19], v[48:49], 2.0, -v[50:51]
	v_mul_f64 v[60:61], v[58:59], v[36:37]
	v_mad_u64_u32 v[54:55], s[6:7], s8, v67, 0
	v_fma_f64 v[36:37], v[58:59], v[34:35], v[56:57]
	v_fma_f64 v[48:49], v[50:51], v[62:63], v[73:74]
	v_fma_f64 v[26:27], v[114:115], v[118:119], -v[77:78]
	v_mul_f64 v[50:51], v[79:80], v[52:53]
	v_mul_f64 v[56:57], v[18:19], v[52:53]
	v_mad_u64_u32 v[58:59], s[6:7], s2, v68, 0
	v_mov_b32_e32 v0, v55
	v_fma_f64 v[34:35], v[64:65], v[34:35], -v[60:61]
	v_mad_u64_u32 v[60:61], s[6:7], s9, v67, v[0:1]
	v_mov_b32_e32 v0, v59
	v_fma_f64 v[46:47], v[69:70], v[62:63], -v[75:76]
	v_mad_u64_u32 v[61:62], s[6:7], s3, v68, v[0:1]
	v_fma_f64 v[52:53], v[18:19], v[26:27], v[50:51]
	v_fma_f64 v[50:51], v[79:80], v[26:27], -v[56:57]
	v_mov_b32_e32 v55, v60
	v_mov_b32_e32 v0, s0
	v_mad_u64_u32 v[26:27], s[0:1], s2, v72, 0
	v_lshlrev_b64 v[18:19], 4, v[54:55]
	v_mov_b32_e32 v59, v61
	v_add_co_u32_e32 v56, vcc, s4, v18
	v_addc_co_u32_e32 v57, vcc, v0, v19, vcc
	v_mov_b32_e32 v0, v27
	v_mad_u64_u32 v[54:55], s[0:1], s3, v72, v[0:1]
	s_movk_i32 s0, 0xc0
	v_and_or_b32 v13, v22, s0, v21
	v_mad_u64_u32 v[21:22], s[4:5], s2, v13, 0
	v_lshlrev_b64 v[18:19], 4, v[58:59]
	v_mov_b32_e32 v27, v54
	v_add_co_u32_e32 v18, vcc, v56, v18
	v_addc_co_u32_e32 v19, vcc, v57, v19, vcc
	v_mov_b32_e32 v0, v22
	global_store_dwordx4 v[18:19], v[50:53], off
	v_lshlrev_b64 v[18:19], 4, v[26:27]
	v_mad_u64_u32 v[26:27], s[4:5], s3, v13, v[0:1]
	v_or_b32_e32 v13, 32, v13
	v_mad_u64_u32 v[50:51], s[4:5], s2, v13, 0
	v_add_co_u32_e32 v18, vcc, v56, v18
	v_addc_co_u32_e32 v19, vcc, v57, v19, vcc
	v_mov_b32_e32 v22, v26
	v_mov_b32_e32 v0, v51
	global_store_dwordx4 v[18:19], v[46:49], off
	v_lshlrev_b64 v[18:19], 4, v[21:22]
	v_mad_u64_u32 v[21:22], s[4:5], s3, v13, v[0:1]
	v_and_or_b32 v13, v23, s0, v136
	v_add_co_u32_e32 v18, vcc, v56, v18
	v_mov_b32_e32 v51, v21
	v_mad_u64_u32 v[21:22], s[4:5], s2, v13, 0
	v_addc_co_u32_e32 v19, vcc, v57, v19, vcc
	v_mov_b32_e32 v0, v22
	v_mad_u64_u32 v[22:23], s[4:5], s3, v13, v[0:1]
	v_or_b32_e32 v13, 32, v13
	v_mad_u64_u32 v[26:27], s[4:5], s2, v13, 0
	global_store_dwordx4 v[18:19], v[34:37], off
	v_lshlrev_b64 v[18:19], 4, v[50:51]
	v_mov_b32_e32 v0, v27
	v_add_co_u32_e32 v18, vcc, v56, v18
	v_addc_co_u32_e32 v19, vcc, v57, v19, vcc
	global_store_dwordx4 v[18:19], v[30:33], off
	v_lshlrev_b64 v[18:19], 4, v[21:22]
	v_mad_u64_u32 v[21:22], s[4:5], s3, v13, v[0:1]
	v_and_or_b32 v13, v20, s0, v66
	v_add_co_u32_e32 v18, vcc, v56, v18
	v_mov_b32_e32 v27, v21
	v_mad_u64_u32 v[20:21], s[4:5], s2, v13, 0
	v_addc_co_u32_e32 v19, vcc, v57, v19, vcc
	v_mov_b32_e32 v0, v21
	v_mad_u64_u32 v[21:22], s[4:5], s3, v13, v[0:1]
	v_or_b32_e32 v13, 32, v13
	v_mad_u64_u32 v[22:23], s[4:5], s2, v13, 0
	global_store_dwordx4 v[18:19], v[122:125], off
	v_lshlrev_b64 v[18:19], 4, v[26:27]
	v_mov_b32_e32 v0, v23
	v_add_co_u32_e32 v18, vcc, v56, v18
	v_addc_co_u32_e32 v19, vcc, v57, v19, vcc
	global_store_dwordx4 v[18:19], v[38:41], off
	v_lshlrev_b64 v[18:19], 4, v[20:21]
	v_mad_u64_u32 v[20:21], s[4:5], s3, v13, v[0:1]
	v_and_or_b32 v13, v17, s0, v29
	v_add_co_u32_e32 v18, vcc, v56, v18
	v_mov_b32_e32 v23, v20
	v_mad_u64_u32 v[20:21], s[4:5], s2, v13, 0
	v_addc_co_u32_e32 v19, vcc, v57, v19, vcc
	v_mov_b32_e32 v0, v21
	global_store_dwordx4 v[18:19], v[110:113], off
	v_lshlrev_b64 v[18:19], 4, v[22:23]
	v_mad_u64_u32 v[21:22], s[4:5], s3, v13, v[0:1]
	v_or_b32_e32 v13, 32, v13
	v_mad_u64_u32 v[22:23], s[4:5], s2, v13, 0
	v_add_co_u32_e32 v17, vcc, v56, v18
	v_addc_co_u32_e32 v18, vcc, v57, v19, vcc
	v_mov_b32_e32 v0, v23
	global_store_dwordx4 v[17:18], v[102:105], off
	v_lshlrev_b64 v[17:18], 4, v[20:21]
	v_mad_u64_u32 v[19:20], s[4:5], s3, v13, v[0:1]
	v_and_or_b32 v13, v16, s0, v28
	v_add_co_u32_e32 v17, vcc, v56, v17
	v_mov_b32_e32 v23, v19
	v_mad_u64_u32 v[19:20], s[4:5], s2, v13, 0
	v_addc_co_u32_e32 v18, vcc, v57, v18, vcc
	v_mov_b32_e32 v0, v20
	v_mad_u64_u32 v[20:21], s[4:5], s3, v13, v[0:1]
	v_or_b32_e32 v13, 32, v13
	global_store_dwordx4 v[17:18], v[93:96], off
	v_lshlrev_b64 v[17:18], 4, v[22:23]
	v_mad_u64_u32 v[21:22], s[4:5], s2, v13, 0
	v_add_co_u32_e32 v16, vcc, v56, v17
	v_addc_co_u32_e32 v17, vcc, v57, v18, vcc
	v_mov_b32_e32 v0, v22
	global_store_dwordx4 v[16:17], v[81:84], off
	v_lshlrev_b64 v[16:17], 4, v[19:20]
	v_mad_u64_u32 v[18:19], s[4:5], s3, v13, v[0:1]
	v_and_or_b32 v13, v15, s0, v25
	v_add_co_u32_e32 v16, vcc, v56, v16
	v_mov_b32_e32 v22, v18
	v_mad_u64_u32 v[18:19], s[4:5], s2, v13, 0
	v_addc_co_u32_e32 v17, vcc, v57, v17, vcc
	v_mov_b32_e32 v0, v19
	v_mad_u64_u32 v[19:20], s[4:5], s3, v13, v[0:1]
	v_or_b32_e32 v13, 32, v13
	global_store_dwordx4 v[16:17], v[42:45], off
	v_lshlrev_b64 v[16:17], 4, v[21:22]
	v_mad_u64_u32 v[20:21], s[4:5], s2, v13, 0
	v_add_co_u32_e32 v15, vcc, v56, v16
	v_addc_co_u32_e32 v16, vcc, v57, v17, vcc
	global_store_dwordx4 v[15:16], v[89:92], off
	v_lshlrev_b64 v[15:16], 4, v[18:19]
	v_mov_b32_e32 v0, v21
	v_and_or_b32 v19, v14, s0, v24
	v_mad_u64_u32 v[17:18], s[4:5], s3, v13, v[0:1]
	v_mad_u64_u32 v[13:14], s[0:1], s2, v19, 0
	v_add_co_u32_e32 v15, vcc, v56, v15
	v_addc_co_u32_e32 v16, vcc, v57, v16, vcc
	v_mov_b32_e32 v21, v17
	v_mov_b32_e32 v0, v14
	global_store_dwordx4 v[15:16], v[85:88], off
	v_lshlrev_b64 v[15:16], 4, v[20:21]
	v_mad_u64_u32 v[17:18], s[0:1], s3, v19, v[0:1]
	v_or_b32_e32 v20, 32, v19
	v_mad_u64_u32 v[18:19], s[0:1], s2, v20, 0
	v_add_co_u32_e32 v15, vcc, v56, v15
	v_addc_co_u32_e32 v16, vcc, v57, v16, vcc
	v_mov_b32_e32 v0, v19
	global_store_dwordx4 v[15:16], v[9:12], off
	v_mov_b32_e32 v14, v17
	v_mad_u64_u32 v[11:12], s[0:1], s3, v20, v[0:1]
	v_lshlrev_b64 v[9:10], 4, v[13:14]
	v_add_co_u32_e32 v9, vcc, v56, v9
	v_addc_co_u32_e32 v10, vcc, v57, v10, vcc
	v_mov_b32_e32 v19, v11
	global_store_dwordx4 v[9:10], v[5:8], off
	s_nop 0
	v_lshlrev_b64 v[5:6], 4, v[18:19]
	v_add_co_u32_e32 v5, vcc, v56, v5
	v_addc_co_u32_e32 v6, vcc, v57, v6, vcc
	global_store_dwordx4 v[5:6], v[1:4], off
.LBB0_12:
	s_endpgm
	.section	.rodata,"a",@progbits
	.p2align	6, 0x0
	.amdhsa_kernel fft_rtc_fwd_len64_factors_2_2_8_2_wgs_64_tpt_4_dim2_dp_op_CI_CI_sbcc_twdbase8_2step_dirReg
		.amdhsa_group_segment_fixed_size 0
		.amdhsa_private_segment_fixed_size 0
		.amdhsa_kernarg_size 104
		.amdhsa_user_sgpr_count 6
		.amdhsa_user_sgpr_private_segment_buffer 1
		.amdhsa_user_sgpr_dispatch_ptr 0
		.amdhsa_user_sgpr_queue_ptr 0
		.amdhsa_user_sgpr_kernarg_segment_ptr 1
		.amdhsa_user_sgpr_dispatch_id 0
		.amdhsa_user_sgpr_flat_scratch_init 0
		.amdhsa_user_sgpr_private_segment_size 0
		.amdhsa_uses_dynamic_stack 0
		.amdhsa_system_sgpr_private_segment_wavefront_offset 0
		.amdhsa_system_sgpr_workgroup_id_x 1
		.amdhsa_system_sgpr_workgroup_id_y 0
		.amdhsa_system_sgpr_workgroup_id_z 0
		.amdhsa_system_sgpr_workgroup_info 0
		.amdhsa_system_vgpr_workitem_id 0
		.amdhsa_next_free_vgpr 137
		.amdhsa_next_free_sgpr 30
		.amdhsa_reserve_vcc 1
		.amdhsa_reserve_flat_scratch 0
		.amdhsa_float_round_mode_32 0
		.amdhsa_float_round_mode_16_64 0
		.amdhsa_float_denorm_mode_32 3
		.amdhsa_float_denorm_mode_16_64 3
		.amdhsa_dx10_clamp 1
		.amdhsa_ieee_mode 1
		.amdhsa_fp16_overflow 0
		.amdhsa_exception_fp_ieee_invalid_op 0
		.amdhsa_exception_fp_denorm_src 0
		.amdhsa_exception_fp_ieee_div_zero 0
		.amdhsa_exception_fp_ieee_overflow 0
		.amdhsa_exception_fp_ieee_underflow 0
		.amdhsa_exception_fp_ieee_inexact 0
		.amdhsa_exception_int_div_zero 0
	.end_amdhsa_kernel
	.text
.Lfunc_end0:
	.size	fft_rtc_fwd_len64_factors_2_2_8_2_wgs_64_tpt_4_dim2_dp_op_CI_CI_sbcc_twdbase8_2step_dirReg, .Lfunc_end0-fft_rtc_fwd_len64_factors_2_2_8_2_wgs_64_tpt_4_dim2_dp_op_CI_CI_sbcc_twdbase8_2step_dirReg
                                        ; -- End function
	.section	.AMDGPU.csdata,"",@progbits
; Kernel info:
; codeLenInByte = 9276
; NumSgprs: 34
; NumVgprs: 137
; ScratchSize: 0
; MemoryBound: 1
; FloatMode: 240
; IeeeMode: 1
; LDSByteSize: 0 bytes/workgroup (compile time only)
; SGPRBlocks: 4
; VGPRBlocks: 34
; NumSGPRsForWavesPerEU: 34
; NumVGPRsForWavesPerEU: 137
; Occupancy: 1
; WaveLimiterHint : 1
; COMPUTE_PGM_RSRC2:SCRATCH_EN: 0
; COMPUTE_PGM_RSRC2:USER_SGPR: 6
; COMPUTE_PGM_RSRC2:TRAP_HANDLER: 0
; COMPUTE_PGM_RSRC2:TGID_X_EN: 1
; COMPUTE_PGM_RSRC2:TGID_Y_EN: 0
; COMPUTE_PGM_RSRC2:TGID_Z_EN: 0
; COMPUTE_PGM_RSRC2:TIDIG_COMP_CNT: 0
	.type	__hip_cuid_db8705dadd8b675a,@object ; @__hip_cuid_db8705dadd8b675a
	.section	.bss,"aw",@nobits
	.globl	__hip_cuid_db8705dadd8b675a
__hip_cuid_db8705dadd8b675a:
	.byte	0                               ; 0x0
	.size	__hip_cuid_db8705dadd8b675a, 1

	.ident	"AMD clang version 19.0.0git (https://github.com/RadeonOpenCompute/llvm-project roc-6.4.0 25133 c7fe45cf4b819c5991fe208aaa96edf142730f1d)"
	.section	".note.GNU-stack","",@progbits
	.addrsig
	.addrsig_sym __hip_cuid_db8705dadd8b675a
	.amdgpu_metadata
---
amdhsa.kernels:
  - .args:
      - .actual_access:  read_only
        .address_space:  global
        .offset:         0
        .size:           8
        .value_kind:     global_buffer
      - .address_space:  global
        .offset:         8
        .size:           8
        .value_kind:     global_buffer
      - .actual_access:  read_only
        .address_space:  global
        .offset:         16
        .size:           8
        .value_kind:     global_buffer
      - .actual_access:  read_only
        .address_space:  global
        .offset:         24
        .size:           8
        .value_kind:     global_buffer
      - .actual_access:  read_only
        .address_space:  global
        .offset:         32
        .size:           8
        .value_kind:     global_buffer
      - .offset:         40
        .size:           8
        .value_kind:     by_value
      - .actual_access:  read_only
        .address_space:  global
        .offset:         48
        .size:           8
        .value_kind:     global_buffer
      - .actual_access:  read_only
        .address_space:  global
        .offset:         56
        .size:           8
        .value_kind:     global_buffer
      - .offset:         64
        .size:           4
        .value_kind:     by_value
      - .actual_access:  read_only
        .address_space:  global
        .offset:         72
        .size:           8
        .value_kind:     global_buffer
      - .actual_access:  read_only
        .address_space:  global
        .offset:         80
        .size:           8
        .value_kind:     global_buffer
      - .actual_access:  read_only
        .address_space:  global
        .offset:         88
        .size:           8
        .value_kind:     global_buffer
      - .actual_access:  write_only
        .address_space:  global
        .offset:         96
        .size:           8
        .value_kind:     global_buffer
    .group_segment_fixed_size: 0
    .kernarg_segment_align: 8
    .kernarg_segment_size: 104
    .language:       OpenCL C
    .language_version:
      - 2
      - 0
    .max_flat_workgroup_size: 64
    .name:           fft_rtc_fwd_len64_factors_2_2_8_2_wgs_64_tpt_4_dim2_dp_op_CI_CI_sbcc_twdbase8_2step_dirReg
    .private_segment_fixed_size: 0
    .sgpr_count:     34
    .sgpr_spill_count: 0
    .symbol:         fft_rtc_fwd_len64_factors_2_2_8_2_wgs_64_tpt_4_dim2_dp_op_CI_CI_sbcc_twdbase8_2step_dirReg.kd
    .uniform_work_group_size: 1
    .uses_dynamic_stack: false
    .vgpr_count:     137
    .vgpr_spill_count: 0
    .wavefront_size: 64
amdhsa.target:   amdgcn-amd-amdhsa--gfx906
amdhsa.version:
  - 1
  - 2
...

	.end_amdgpu_metadata
